;; amdgpu-corpus repo=ROCm/rocFFT kind=compiled arch=gfx1030 opt=O3
	.text
	.amdgcn_target "amdgcn-amd-amdhsa--gfx1030"
	.amdhsa_code_object_version 6
	.protected	fft_rtc_fwd_len1372_factors_2_2_7_7_7_wgs_196_tpt_98_halfLds_half_ip_CI_unitstride_sbrr_C2R_dirReg ; -- Begin function fft_rtc_fwd_len1372_factors_2_2_7_7_7_wgs_196_tpt_98_halfLds_half_ip_CI_unitstride_sbrr_C2R_dirReg
	.globl	fft_rtc_fwd_len1372_factors_2_2_7_7_7_wgs_196_tpt_98_halfLds_half_ip_CI_unitstride_sbrr_C2R_dirReg
	.p2align	8
	.type	fft_rtc_fwd_len1372_factors_2_2_7_7_7_wgs_196_tpt_98_halfLds_half_ip_CI_unitstride_sbrr_C2R_dirReg,@function
fft_rtc_fwd_len1372_factors_2_2_7_7_7_wgs_196_tpt_98_halfLds_half_ip_CI_unitstride_sbrr_C2R_dirReg: ; @fft_rtc_fwd_len1372_factors_2_2_7_7_7_wgs_196_tpt_98_halfLds_half_ip_CI_unitstride_sbrr_C2R_dirReg
; %bb.0:
	s_clause 0x2
	s_load_dwordx4 s[8:11], s[4:5], 0x0
	s_load_dwordx2 s[2:3], s[4:5], 0x50
	s_load_dwordx2 s[12:13], s[4:5], 0x18
	v_mul_u32_u24_e32 v1, 0x29d, v0
	v_mov_b32_e32 v3, 0
	v_lshrrev_b32_e32 v9, 16, v1
	v_mov_b32_e32 v1, 0
	v_mov_b32_e32 v6, v3
	v_mov_b32_e32 v2, 0
	v_lshl_add_u32 v5, s6, 1, v9
	s_waitcnt lgkmcnt(0)
	v_cmp_lt_u64_e64 s0, s[10:11], 2
	s_and_b32 vcc_lo, exec_lo, s0
	s_cbranch_vccnz .LBB0_8
; %bb.1:
	s_load_dwordx2 s[0:1], s[4:5], 0x10
	v_mov_b32_e32 v1, 0
	s_add_u32 s6, s12, 8
	v_mov_b32_e32 v2, 0
	s_addc_u32 s7, s13, 0
	s_mov_b64 s[16:17], 1
	s_waitcnt lgkmcnt(0)
	s_add_u32 s14, s0, 8
	s_addc_u32 s15, s1, 0
.LBB0_2:                                ; =>This Inner Loop Header: Depth=1
	s_load_dwordx2 s[18:19], s[14:15], 0x0
                                        ; implicit-def: $vgpr7_vgpr8
	s_mov_b32 s0, exec_lo
	s_waitcnt lgkmcnt(0)
	v_or_b32_e32 v4, s19, v6
	v_cmpx_ne_u64_e32 0, v[3:4]
	s_xor_b32 s1, exec_lo, s0
	s_cbranch_execz .LBB0_4
; %bb.3:                                ;   in Loop: Header=BB0_2 Depth=1
	v_cvt_f32_u32_e32 v4, s18
	v_cvt_f32_u32_e32 v7, s19
	s_sub_u32 s0, 0, s18
	s_subb_u32 s20, 0, s19
	v_fmac_f32_e32 v4, 0x4f800000, v7
	v_rcp_f32_e32 v4, v4
	v_mul_f32_e32 v4, 0x5f7ffffc, v4
	v_mul_f32_e32 v7, 0x2f800000, v4
	v_trunc_f32_e32 v7, v7
	v_fmac_f32_e32 v4, 0xcf800000, v7
	v_cvt_u32_f32_e32 v7, v7
	v_cvt_u32_f32_e32 v4, v4
	v_mul_lo_u32 v8, s0, v7
	v_mul_hi_u32 v10, s0, v4
	v_mul_lo_u32 v11, s20, v4
	v_add_nc_u32_e32 v8, v10, v8
	v_mul_lo_u32 v10, s0, v4
	v_add_nc_u32_e32 v8, v8, v11
	v_mul_hi_u32 v11, v4, v10
	v_mul_lo_u32 v12, v4, v8
	v_mul_hi_u32 v13, v4, v8
	v_mul_hi_u32 v14, v7, v10
	v_mul_lo_u32 v10, v7, v10
	v_mul_hi_u32 v15, v7, v8
	v_mul_lo_u32 v8, v7, v8
	v_add_co_u32 v11, vcc_lo, v11, v12
	v_add_co_ci_u32_e32 v12, vcc_lo, 0, v13, vcc_lo
	v_add_co_u32 v10, vcc_lo, v11, v10
	v_add_co_ci_u32_e32 v10, vcc_lo, v12, v14, vcc_lo
	v_add_co_ci_u32_e32 v11, vcc_lo, 0, v15, vcc_lo
	v_add_co_u32 v8, vcc_lo, v10, v8
	v_add_co_ci_u32_e32 v10, vcc_lo, 0, v11, vcc_lo
	v_add_co_u32 v4, vcc_lo, v4, v8
	v_add_co_ci_u32_e32 v7, vcc_lo, v7, v10, vcc_lo
	v_mul_hi_u32 v8, s0, v4
	v_mul_lo_u32 v11, s20, v4
	v_mul_lo_u32 v10, s0, v7
	v_add_nc_u32_e32 v8, v8, v10
	v_mul_lo_u32 v10, s0, v4
	v_add_nc_u32_e32 v8, v8, v11
	v_mul_hi_u32 v11, v4, v10
	v_mul_lo_u32 v12, v4, v8
	v_mul_hi_u32 v13, v4, v8
	v_mul_hi_u32 v14, v7, v10
	v_mul_lo_u32 v10, v7, v10
	v_mul_hi_u32 v15, v7, v8
	v_mul_lo_u32 v8, v7, v8
	v_add_co_u32 v11, vcc_lo, v11, v12
	v_add_co_ci_u32_e32 v12, vcc_lo, 0, v13, vcc_lo
	v_add_co_u32 v10, vcc_lo, v11, v10
	v_add_co_ci_u32_e32 v10, vcc_lo, v12, v14, vcc_lo
	v_add_co_ci_u32_e32 v11, vcc_lo, 0, v15, vcc_lo
	v_add_co_u32 v8, vcc_lo, v10, v8
	v_add_co_ci_u32_e32 v10, vcc_lo, 0, v11, vcc_lo
	v_add_co_u32 v4, vcc_lo, v4, v8
	v_add_co_ci_u32_e32 v12, vcc_lo, v7, v10, vcc_lo
	v_mul_hi_u32 v14, v5, v4
	v_mad_u64_u32 v[10:11], null, v6, v4, 0
	v_mad_u64_u32 v[7:8], null, v5, v12, 0
	;; [unrolled: 1-line block ×3, first 2 shown]
	v_add_co_u32 v4, vcc_lo, v14, v7
	v_add_co_ci_u32_e32 v7, vcc_lo, 0, v8, vcc_lo
	v_add_co_u32 v4, vcc_lo, v4, v10
	v_add_co_ci_u32_e32 v4, vcc_lo, v7, v11, vcc_lo
	v_add_co_ci_u32_e32 v7, vcc_lo, 0, v13, vcc_lo
	v_add_co_u32 v4, vcc_lo, v4, v12
	v_add_co_ci_u32_e32 v10, vcc_lo, 0, v7, vcc_lo
	v_mul_lo_u32 v11, s19, v4
	v_mad_u64_u32 v[7:8], null, s18, v4, 0
	v_mul_lo_u32 v12, s18, v10
	v_sub_co_u32 v7, vcc_lo, v5, v7
	v_add3_u32 v8, v8, v12, v11
	v_sub_nc_u32_e32 v11, v6, v8
	v_subrev_co_ci_u32_e64 v11, s0, s19, v11, vcc_lo
	v_add_co_u32 v12, s0, v4, 2
	v_add_co_ci_u32_e64 v13, s0, 0, v10, s0
	v_sub_co_u32 v14, s0, v7, s18
	v_sub_co_ci_u32_e32 v8, vcc_lo, v6, v8, vcc_lo
	v_subrev_co_ci_u32_e64 v11, s0, 0, v11, s0
	v_cmp_le_u32_e32 vcc_lo, s18, v14
	v_cmp_eq_u32_e64 s0, s19, v8
	v_cndmask_b32_e64 v14, 0, -1, vcc_lo
	v_cmp_le_u32_e32 vcc_lo, s19, v11
	v_cndmask_b32_e64 v15, 0, -1, vcc_lo
	v_cmp_le_u32_e32 vcc_lo, s18, v7
	;; [unrolled: 2-line block ×3, first 2 shown]
	v_cndmask_b32_e64 v16, 0, -1, vcc_lo
	v_cmp_eq_u32_e32 vcc_lo, s19, v11
	v_cndmask_b32_e64 v7, v16, v7, s0
	v_cndmask_b32_e32 v11, v15, v14, vcc_lo
	v_add_co_u32 v14, vcc_lo, v4, 1
	v_add_co_ci_u32_e32 v15, vcc_lo, 0, v10, vcc_lo
	v_cmp_ne_u32_e32 vcc_lo, 0, v11
	v_cndmask_b32_e32 v8, v15, v13, vcc_lo
	v_cndmask_b32_e32 v11, v14, v12, vcc_lo
	v_cmp_ne_u32_e32 vcc_lo, 0, v7
	v_cndmask_b32_e32 v8, v10, v8, vcc_lo
	v_cndmask_b32_e32 v7, v4, v11, vcc_lo
.LBB0_4:                                ;   in Loop: Header=BB0_2 Depth=1
	s_andn2_saveexec_b32 s0, s1
	s_cbranch_execz .LBB0_6
; %bb.5:                                ;   in Loop: Header=BB0_2 Depth=1
	v_cvt_f32_u32_e32 v4, s18
	s_sub_i32 s1, 0, s18
	v_rcp_iflag_f32_e32 v4, v4
	v_mul_f32_e32 v4, 0x4f7ffffe, v4
	v_cvt_u32_f32_e32 v4, v4
	v_mul_lo_u32 v7, s1, v4
	v_mul_hi_u32 v7, v4, v7
	v_add_nc_u32_e32 v4, v4, v7
	v_mul_hi_u32 v4, v5, v4
	v_mul_lo_u32 v7, v4, s18
	v_add_nc_u32_e32 v8, 1, v4
	v_sub_nc_u32_e32 v7, v5, v7
	v_subrev_nc_u32_e32 v10, s18, v7
	v_cmp_le_u32_e32 vcc_lo, s18, v7
	v_cndmask_b32_e32 v7, v7, v10, vcc_lo
	v_cndmask_b32_e32 v4, v4, v8, vcc_lo
	v_cmp_le_u32_e32 vcc_lo, s18, v7
	v_add_nc_u32_e32 v8, 1, v4
	v_cndmask_b32_e32 v7, v4, v8, vcc_lo
	v_mov_b32_e32 v8, v3
.LBB0_6:                                ;   in Loop: Header=BB0_2 Depth=1
	s_or_b32 exec_lo, exec_lo, s0
	s_load_dwordx2 s[0:1], s[6:7], 0x0
	v_mul_lo_u32 v4, v8, s18
	v_mul_lo_u32 v12, v7, s19
	v_mad_u64_u32 v[10:11], null, v7, s18, 0
	s_add_u32 s16, s16, 1
	s_addc_u32 s17, s17, 0
	s_add_u32 s6, s6, 8
	s_addc_u32 s7, s7, 0
	;; [unrolled: 2-line block ×3, first 2 shown]
	v_add3_u32 v4, v11, v12, v4
	v_sub_co_u32 v5, vcc_lo, v5, v10
	v_sub_co_ci_u32_e32 v4, vcc_lo, v6, v4, vcc_lo
	s_waitcnt lgkmcnt(0)
	v_mul_lo_u32 v6, s1, v5
	v_mul_lo_u32 v4, s0, v4
	v_mad_u64_u32 v[1:2], null, s0, v5, v[1:2]
	v_cmp_ge_u64_e64 s0, s[16:17], s[10:11]
	s_and_b32 vcc_lo, exec_lo, s0
	v_add3_u32 v2, v6, v2, v4
	s_cbranch_vccnz .LBB0_9
; %bb.7:                                ;   in Loop: Header=BB0_2 Depth=1
	v_mov_b32_e32 v5, v7
	v_mov_b32_e32 v6, v8
	s_branch .LBB0_2
.LBB0_8:
	v_mov_b32_e32 v8, v6
	v_mov_b32_e32 v7, v5
.LBB0_9:
	s_lshl_b64 s[0:1], s[10:11], 3
	v_and_b32_e32 v6, 1, v9
	s_add_u32 s0, s12, s0
	s_addc_u32 s1, s13, s1
	v_mul_hi_u32 v3, 0x29cbc15, v0
	s_load_dwordx2 s[0:1], s[0:1], 0x0
	s_load_dwordx2 s[4:5], s[4:5], 0x20
	v_cmp_eq_u32_e32 vcc_lo, 1, v6
	v_mul_u32_u24_e32 v3, 0x62, v3
	v_sub_nc_u32_e32 v0, v0, v3
	s_waitcnt lgkmcnt(0)
	v_mul_lo_u32 v4, s0, v8
	v_mul_lo_u32 v5, s1, v7
	v_mad_u64_u32 v[1:2], null, s0, v7, v[1:2]
	v_add3_u32 v2, v5, v2, v4
	v_cndmask_b32_e64 v4, 0, 0x55d, vcc_lo
	v_cmp_gt_u64_e32 vcc_lo, s[4:5], v[7:8]
	v_lshlrev_b64 v[2:3], 2, v[1:2]
	v_lshlrev_b32_e32 v8, 2, v4
	s_and_saveexec_b32 s1, vcc_lo
	s_cbranch_execz .LBB0_13
; %bb.10:
	v_mov_b32_e32 v1, 0
	s_mov_b32 s4, exec_lo
	v_lshlrev_b64 v[6:7], 2, v[0:1]
	v_add_co_u32 v1, s0, s2, v2
	v_add_co_ci_u32_e64 v5, s0, s3, v3, s0
	v_add_co_u32 v6, s0, v1, v6
	v_add_co_ci_u32_e64 v7, s0, v5, v7, s0
	;; [unrolled: 2-line block ×4, first 2 shown]
	s_clause 0xd
	global_load_dword v13, v[6:7], off
	global_load_dword v14, v[6:7], off offset:392
	global_load_dword v15, v[6:7], off offset:784
	;; [unrolled: 1-line block ×13, first 2 shown]
	v_lshlrev_b32_e32 v6, 2, v0
	v_add3_u32 v6, 0, v8, v6
	v_add_nc_u32_e32 v12, 0x200, v6
	v_add_nc_u32_e32 v23, 0x400, v6
	;; [unrolled: 1-line block ×6, first 2 shown]
	s_waitcnt vmcnt(12)
	ds_write2_b32 v6, v13, v14 offset1:98
	s_waitcnt vmcnt(10)
	ds_write2_b32 v12, v15, v16 offset0:68 offset1:166
	s_waitcnt vmcnt(8)
	ds_write2_b32 v23, v17, v7 offset0:136 offset1:234
	;; [unrolled: 2-line block ×6, first 2 shown]
	v_cmpx_eq_u32_e32 0x61, v0
	s_cbranch_execz .LBB0_12
; %bb.11:
	v_add_co_u32 v0, s0, 0x1000, v1
	v_add_co_ci_u32_e64 v1, s0, 0, v5, s0
	global_load_dword v1, v[0:1], off offset:1392
	v_mov_b32_e32 v0, 0x61
	s_waitcnt vmcnt(0)
	ds_write_b32 v6, v1 offset:5100
.LBB0_12:
	s_or_b32 exec_lo, exec_lo, s4
.LBB0_13:
	s_or_b32 exec_lo, exec_lo, s1
	v_lshl_add_u32 v6, v4, 2, 0
	v_lshlrev_b32_e32 v9, 2, v0
	s_waitcnt lgkmcnt(0)
	s_barrier
	buffer_gl0_inv
	s_add_u32 s1, s8, 0x1568
	v_add_nc_u32_e32 v7, v6, v9
	v_sub_nc_u32_e32 v13, v6, v9
	s_addc_u32 s4, s9, 0
	s_mov_b32 s5, exec_lo
	ds_read_u16 v12, v7
	ds_read_u16 v14, v13 offset:5488
                                        ; implicit-def: $vgpr4_vgpr5
	s_waitcnt lgkmcnt(0)
	v_add_f16_e32 v11, v14, v12
	v_sub_f16_e32 v10, v12, v14
	v_cmpx_ne_u32_e32 0, v0
	s_xor_b32 s5, exec_lo, s5
	s_cbranch_execz .LBB0_15
; %bb.14:
	v_mov_b32_e32 v1, 0
	v_add_f16_e32 v11, v14, v12
	v_sub_f16_e32 v12, v12, v14
	v_lshlrev_b64 v[4:5], 2, v[0:1]
	v_add_co_u32 v4, s0, s1, v4
	v_add_co_ci_u32_e64 v5, s0, s4, v5, s0
	global_load_dword v4, v[4:5], off
	ds_read_u16 v5, v13 offset:5490
	ds_read_u16 v10, v7 offset:2
	s_waitcnt lgkmcnt(0)
	v_add_f16_e32 v14, v5, v10
	v_sub_f16_e32 v5, v10, v5
	s_waitcnt vmcnt(0)
	v_lshrrev_b32_e32 v15, 16, v4
	v_fma_f16 v16, -v12, v15, v11
	v_fma_f16 v17, v14, v15, -v5
	v_fma_f16 v10, v14, v15, v5
	v_fma_f16 v11, v12, v15, v11
	v_fmac_f16_e32 v16, v4, v14
	v_fmac_f16_e32 v17, v12, v4
	;; [unrolled: 1-line block ×3, first 2 shown]
	v_fma_f16 v11, -v4, v14, v11
	v_mov_b32_e32 v5, v1
	v_mov_b32_e32 v4, v0
	v_pack_b32_f16 v12, v16, v17
	ds_write_b32 v13, v12 offset:5488
.LBB0_15:
	s_andn2_saveexec_b32 s0, s5
	s_cbranch_execz .LBB0_17
; %bb.16:
	ds_read_b32 v1, v6 offset:2744
	v_mov_b32_e32 v4, 0
	v_mov_b32_e32 v5, 0
	s_waitcnt lgkmcnt(0)
	v_pk_mul_f16 v1, 0xc0004000, v1
	ds_write_b32 v6, v1 offset:2744
.LBB0_17:
	s_or_b32 exec_lo, exec_lo, s0
	v_lshlrev_b64 v[4:5], 2, v[4:5]
	v_add_nc_u32_e32 v25, 0xc4, v0
	v_add_nc_u32_e32 v26, 0x126, v0
	;; [unrolled: 1-line block ×5, first 2 shown]
	v_add_co_u32 v4, s0, s1, v4
	v_add_co_ci_u32_e64 v5, s0, s4, v5, s0
	v_and_b32_e32 v30, 1, v0
	v_lshlrev_b32_e32 v33, 3, v25
	v_lshlrev_b32_e32 v34, 3, v26
	s_clause 0x4
	global_load_dword v1, v[4:5], off offset:392
	global_load_dword v12, v[4:5], off offset:784
	global_load_dword v14, v[4:5], off offset:1176
	global_load_dword v15, v[4:5], off offset:1568
	global_load_dword v16, v[4:5], off offset:1960
	v_add_co_u32 v4, s0, 0x800, v4
	v_add_co_ci_u32_e64 v5, s0, 0, v5, s0
	v_lshlrev_b32_e32 v37, 3, v27
	v_lshlrev_b32_e32 v38, 3, v28
	;; [unrolled: 1-line block ×3, first 2 shown]
	global_load_dword v5, v[4:5], off offset:304
	v_perm_b32 v4, v10, v11, 0x5040100
	v_lshlrev_b32_e32 v40, 2, v30
	v_add3_u32 v33, 0, v33, v8
	v_add3_u32 v34, 0, v34, v8
	;; [unrolled: 1-line block ×3, first 2 shown]
	ds_write_b32 v7, v4
	ds_read_b32 v4, v7 offset:392
	ds_read_b32 v10, v13 offset:5096
	v_add3_u32 v38, 0, v38, v8
	v_add3_u32 v39, 0, v39, v8
	s_waitcnt lgkmcnt(0)
	v_add_f16_e32 v11, v4, v10
	v_add_f16_sdwa v17, v10, v4 dst_sel:DWORD dst_unused:UNUSED_PAD src0_sel:WORD_1 src1_sel:WORD_1
	v_sub_f16_e32 v18, v4, v10
	v_sub_f16_sdwa v4, v4, v10 dst_sel:DWORD dst_unused:UNUSED_PAD src0_sel:WORD_1 src1_sel:WORD_1
	s_waitcnt vmcnt(5)
	v_lshrrev_b32_e32 v19, 16, v1
	v_fma_f16 v10, v18, v19, v11
	v_fma_f16 v20, v17, v19, v4
	v_fma_f16 v11, -v18, v19, v11
	v_fma_f16 v4, v17, v19, -v4
	v_fma_f16 v10, -v1, v17, v10
	v_fmac_f16_e32 v20, v18, v1
	v_fmac_f16_e32 v11, v1, v17
	v_fmac_f16_e32 v4, v18, v1
	v_pack_b32_f16 v1, v10, v20
	s_waitcnt vmcnt(4)
	v_lshrrev_b32_e32 v10, 16, v12
	v_pack_b32_f16 v4, v11, v4
	ds_write_b32 v7, v1 offset:392
	ds_write_b32 v13, v4 offset:5096
	ds_read_b32 v1, v7 offset:784
	ds_read_b32 v4, v13 offset:4704
	s_waitcnt lgkmcnt(0)
	v_add_f16_e32 v11, v1, v4
	v_add_f16_sdwa v17, v4, v1 dst_sel:DWORD dst_unused:UNUSED_PAD src0_sel:WORD_1 src1_sel:WORD_1
	v_sub_f16_e32 v18, v1, v4
	v_sub_f16_sdwa v1, v1, v4 dst_sel:DWORD dst_unused:UNUSED_PAD src0_sel:WORD_1 src1_sel:WORD_1
	v_fma_f16 v4, v18, v10, v11
	v_fma_f16 v19, v17, v10, v1
	v_fma_f16 v11, -v18, v10, v11
	v_fma_f16 v1, v17, v10, -v1
	s_waitcnt vmcnt(3)
	v_lshrrev_b32_e32 v10, 16, v14
	v_fma_f16 v4, -v12, v17, v4
	v_fmac_f16_e32 v19, v18, v12
	v_fmac_f16_e32 v11, v12, v17
	v_fmac_f16_e32 v1, v18, v12
	v_pack_b32_f16 v4, v4, v19
	v_pack_b32_f16 v1, v11, v1
	ds_write_b32 v7, v4 offset:784
	ds_write_b32 v13, v1 offset:4704
	ds_read_b32 v1, v7 offset:1176
	ds_read_b32 v4, v13 offset:4312
	s_waitcnt lgkmcnt(0)
	v_add_f16_e32 v11, v1, v4
	v_add_f16_sdwa v12, v4, v1 dst_sel:DWORD dst_unused:UNUSED_PAD src0_sel:WORD_1 src1_sel:WORD_1
	v_sub_f16_e32 v17, v1, v4
	v_sub_f16_sdwa v1, v1, v4 dst_sel:DWORD dst_unused:UNUSED_PAD src0_sel:WORD_1 src1_sel:WORD_1
	v_fma_f16 v4, v17, v10, v11
	v_fma_f16 v18, v12, v10, v1
	v_fma_f16 v11, -v17, v10, v11
	v_fma_f16 v1, v12, v10, -v1
	s_waitcnt vmcnt(2)
	v_lshrrev_b32_e32 v10, 16, v15
	v_fma_f16 v4, -v14, v12, v4
	v_fmac_f16_e32 v18, v17, v14
	v_fmac_f16_e32 v11, v14, v12
	v_fmac_f16_e32 v1, v17, v14
	v_pack_b32_f16 v4, v4, v18
	;; [unrolled: 21-line block ×3, first 2 shown]
	v_pack_b32_f16 v1, v11, v1
	ds_write_b32 v7, v4 offset:1568
	ds_write_b32 v13, v1 offset:3920
	ds_read_b32 v1, v7 offset:1960
	ds_read_b32 v4, v13 offset:3528
	s_waitcnt lgkmcnt(0)
	v_add_f16_e32 v11, v1, v4
	v_add_f16_sdwa v12, v4, v1 dst_sel:DWORD dst_unused:UNUSED_PAD src0_sel:WORD_1 src1_sel:WORD_1
	v_sub_f16_e32 v14, v1, v4
	v_sub_f16_sdwa v1, v1, v4 dst_sel:DWORD dst_unused:UNUSED_PAD src0_sel:WORD_1 src1_sel:WORD_1
	v_fma_f16 v4, v14, v10, v11
	v_fma_f16 v15, v12, v10, v1
	v_fma_f16 v11, -v14, v10, v11
	v_fma_f16 v1, v12, v10, -v1
	v_fma_f16 v4, -v16, v12, v4
	v_fmac_f16_e32 v15, v14, v16
	v_fmac_f16_e32 v11, v16, v12
	;; [unrolled: 1-line block ×3, first 2 shown]
	v_add_nc_u32_e32 v12, 0x62, v0
	v_pack_b32_f16 v4, v4, v15
	v_pack_b32_f16 v1, v11, v1
	ds_write_b32 v7, v4 offset:1960
	ds_write_b32 v13, v1 offset:3528
	ds_read_b32 v4, v7 offset:2352
	ds_read_b32 v10, v13 offset:3136
	v_add3_u32 v1, 0, v9, v8
	s_waitcnt vmcnt(0)
	v_lshrrev_b32_e32 v11, 16, v5
	v_lshlrev_b32_e32 v32, 3, v12
	v_add_nc_u32_e32 v31, v1, v9
	v_add3_u32 v32, 0, v32, v8
	s_waitcnt lgkmcnt(0)
	v_add_f16_e32 v14, v4, v10
	v_add_f16_sdwa v15, v10, v4 dst_sel:DWORD dst_unused:UNUSED_PAD src0_sel:WORD_1 src1_sel:WORD_1
	v_sub_f16_e32 v16, v4, v10
	v_sub_f16_sdwa v10, v4, v10 dst_sel:DWORD dst_unused:UNUSED_PAD src0_sel:WORD_1 src1_sel:WORD_1
	v_add_nc_u32_e32 v4, 0xa00, v1
	v_fma_f16 v9, v16, v11, v14
	v_fma_f16 v17, v15, v11, v10
	v_fma_f16 v14, -v16, v11, v14
	v_fma_f16 v10, v15, v11, -v10
	v_add_nc_u32_e32 v11, 0x1000, v1
	v_fma_f16 v9, -v5, v15, v9
	v_fmac_f16_e32 v17, v16, v5
	v_fmac_f16_e32 v14, v5, v15
	;; [unrolled: 1-line block ×3, first 2 shown]
	v_add_nc_u32_e32 v5, 0xc00, v1
	v_pack_b32_f16 v15, v9, v17
	v_add_nc_u32_e32 v9, 0x400, v1
	v_pack_b32_f16 v14, v14, v10
	v_add_nc_u32_e32 v10, 0x600, v1
	ds_write_b32 v7, v15 offset:2352
	ds_write_b32 v13, v14 offset:3136
	s_waitcnt lgkmcnt(0)
	s_barrier
	buffer_gl0_inv
	s_barrier
	buffer_gl0_inv
	ds_read2_b32 v[13:14], v4 offset0:46 offset1:144
	ds_read_b32 v35, v7
	ds_read2_b32 v[15:16], v1 offset0:98 offset1:196
	ds_read2_b32 v[17:18], v5 offset0:114 offset1:212
	;; [unrolled: 1-line block ×5, first 2 shown]
	ds_read_b32 v36, v1 offset:5096
	s_waitcnt lgkmcnt(0)
	s_barrier
	buffer_gl0_inv
	v_pk_add_f16 v13, v35, v13 neg_lo:[0,1] neg_hi:[0,1]
	v_pk_add_f16 v14, v15, v14 neg_lo:[0,1] neg_hi:[0,1]
	;; [unrolled: 1-line block ×7, first 2 shown]
	v_pk_fma_f16 v35, v35, 2.0, v13 op_sel_hi:[1,0,1] neg_lo:[0,0,1] neg_hi:[0,0,1]
	v_pk_fma_f16 v15, v15, 2.0, v14 op_sel_hi:[1,0,1] neg_lo:[0,0,1] neg_hi:[0,0,1]
	;; [unrolled: 1-line block ×7, first 2 shown]
	ds_write2_b32 v31, v35, v13 offset1:1
	ds_write2_b32 v32, v15, v14 offset1:1
	;; [unrolled: 1-line block ×7, first 2 shown]
	s_waitcnt lgkmcnt(0)
	s_barrier
	buffer_gl0_inv
	global_load_dword v31, v40, s[8:9]
	v_lshlrev_b32_e32 v13, 1, v0
	v_and_b32_e32 v32, 3, v0
	v_lshlrev_b32_e32 v14, 1, v12
	v_lshlrev_b32_e32 v15, 1, v25
	;; [unrolled: 1-line block ×3, first 2 shown]
	v_and_or_b32 v13, 0xfc, v13, v30
	v_lshlrev_b32_e32 v17, 1, v27
	v_lshlrev_b32_e32 v18, 1, v28
	v_mul_u32_u24_e32 v20, 6, v32
	v_and_or_b32 v14, 0x1fc, v14, v30
	v_lshlrev_b32_e32 v13, 2, v13
	v_and_or_b32 v15, 0x3fc, v15, v30
	v_and_or_b32 v16, 0x3fc, v16, v30
	;; [unrolled: 1-line block ×4, first 2 shown]
	v_lshlrev_b32_e32 v25, 2, v20
	v_add3_u32 v26, 0, v13, v8
	v_lshlrev_b32_e32 v20, 2, v14
	v_lshlrev_b32_e32 v22, 2, v15
	ds_read_b32 v27, v7
	ds_read_b32 v28, v1 offset:5096
	ds_read2_b32 v[13:14], v11 offset0:54 offset1:152
	v_lshlrev_b32_e32 v23, 2, v16
	ds_read2_b32 v[15:16], v5 offset0:114 offset1:212
	v_lshlrev_b32_e32 v24, 2, v17
	;; [unrolled: 2-line block ×3, first 2 shown]
	v_lshlrev_b32_e32 v21, 2, v21
	v_add3_u32 v29, 0, v20, v8
	v_add3_u32 v33, 0, v23, v8
	;; [unrolled: 1-line block ×3, first 2 shown]
	v_and_or_b32 v19, 0x5fc, v19, v30
	v_add3_u32 v30, 0, v22, v8
	v_add3_u32 v35, 0, v21, v8
	v_lshlrev_b32_e32 v19, 2, v19
	v_add3_u32 v36, 0, v19, v8
	ds_read2_b32 v[19:20], v1 offset0:98 offset1:196
	ds_read2_b32 v[21:22], v9 offset0:38 offset1:136
	;; [unrolled: 1-line block ×3, first 2 shown]
	s_waitcnt vmcnt(0) lgkmcnt(0)
	s_barrier
	buffer_gl0_inv
	v_pk_mul_f16 v37, v31, v28 op_sel:[0,1]
	v_pk_mul_f16 v38, v31, v14 op_sel:[0,1]
	;; [unrolled: 1-line block ×7, first 2 shown]
	v_pk_fma_f16 v44, v31, v28, v37 op_sel:[0,0,1] op_sel_hi:[1,1,0] neg_lo:[0,0,1] neg_hi:[0,0,1]
	v_pk_fma_f16 v28, v31, v28, v37 op_sel:[0,0,1] op_sel_hi:[1,0,0]
	v_pk_fma_f16 v37, v31, v14, v38 op_sel:[0,0,1] op_sel_hi:[1,1,0] neg_lo:[0,0,1] neg_hi:[0,0,1]
	v_pk_fma_f16 v14, v31, v14, v38 op_sel:[0,0,1] op_sel_hi:[1,0,0]
	;; [unrolled: 2-line block ×7, first 2 shown]
	v_bfi_b32 v15, 0xffff, v40, v15
	v_bfi_b32 v16, 0xffff, v39, v16
	v_bfi_b32 v18, 0xffff, v41, v18
	v_bfi_b32 v13, 0xffff, v38, v13
	v_bfi_b32 v17, 0xffff, v42, v17
	v_bfi_b32 v28, 0xffff, v44, v28
	v_bfi_b32 v14, 0xffff, v37, v14
	v_pk_add_f16 v18, v19, v18 neg_lo:[0,1] neg_hi:[0,1]
	v_pk_add_f16 v15, v20, v15 neg_lo:[0,1] neg_hi:[0,1]
	v_pk_add_f16 v17, v27, v17 neg_lo:[0,1] neg_hi:[0,1]
	v_pk_add_f16 v16, v21, v16 neg_lo:[0,1] neg_hi:[0,1]
	v_pk_add_f16 v13, v22, v13 neg_lo:[0,1] neg_hi:[0,1]
	v_pk_add_f16 v28, v24, v28 neg_lo:[0,1] neg_hi:[0,1]
	v_pk_add_f16 v14, v23, v14 neg_lo:[0,1] neg_hi:[0,1]
	v_pk_fma_f16 v27, v27, 2.0, v17 op_sel_hi:[1,0,1] neg_lo:[0,0,1] neg_hi:[0,0,1]
	v_pk_fma_f16 v19, v19, 2.0, v18 op_sel_hi:[1,0,1] neg_lo:[0,0,1] neg_hi:[0,0,1]
	;; [unrolled: 1-line block ×7, first 2 shown]
	ds_write2_b32 v26, v27, v17 offset1:2
	ds_write2_b32 v29, v19, v18 offset1:2
	;; [unrolled: 1-line block ×7, first 2 shown]
	s_waitcnt lgkmcnt(0)
	s_barrier
	buffer_gl0_inv
	global_load_dwordx4 v[16:19], v25, s[8:9] offset:8
	v_and_b32_e32 v13, 3, v12
	global_load_dwordx2 v[24:25], v25, s[8:9] offset:24
	v_lshrrev_b32_e32 v28, 2, v0
	v_lshrrev_b16 v15, 2, v12
	v_lshrrev_b32_e32 v29, 2, v12
	v_mul_u32_u24_e32 v14, 6, v13
	v_mov_b32_e32 v40, 6
	v_mul_u32_u24_e32 v28, 28, v28
	v_and_b32_e32 v15, 63, v15
	v_mul_u32_u24_e32 v29, 28, v29
	v_lshlrev_b32_e32 v14, 2, v14
	s_clause 0x1
	global_load_dwordx4 v[20:23], v14, s[8:9] offset:8
	global_load_dwordx2 v[26:27], v14, s[8:9] offset:24
	v_lshrrev_b16 v14, 2, v0
	v_or_b32_e32 v38, v28, v32
	v_mul_lo_u16 v15, v15, 37
	v_or_b32_e32 v41, v29, v13
	v_and_b32_e32 v14, 63, v14
	v_lshlrev_b32_e32 v42, 2, v38
	v_lshrrev_b16 v15, 8, v15
	v_lshlrev_b32_e32 v41, 2, v41
	v_mul_lo_u16 v14, v14, 37
	v_add3_u32 v42, 0, v42, v8
	v_mul_lo_u16 v43, v15, 28
	v_add3_u32 v41, 0, v41, v8
	v_lshrrev_b16 v14, 8, v14
	v_sub_nc_u16 v12, v12, v43
	v_mul_lo_u16 v30, v14, 28
	v_sub_nc_u16 v13, v0, v30
	ds_read2_b32 v[28:29], v11 offset0:54 offset1:152
	ds_read2_b32 v[30:31], v9 offset0:38 offset1:136
	;; [unrolled: 1-line block ×6, first 2 shown]
	v_mul_u32_u24_sdwa v44, v13, v40 dst_sel:DWORD dst_unused:UNUSED_PAD src0_sel:BYTE_0 src1_sel:DWORD
	v_lshlrev_b32_e32 v43, 2, v44
	ds_read_b32 v44, v7
	ds_read_b32 v45, v1 offset:5096
	s_waitcnt vmcnt(0) lgkmcnt(0)
	s_barrier
	buffer_gl0_inv
	v_lshrrev_b32_e32 v46, 16, v29
	v_lshrrev_b32_e32 v53, 16, v31
	;; [unrolled: 1-line block ×11, first 2 shown]
	v_mul_f16_sdwa v57, v16, v39 dst_sel:DWORD dst_unused:UNUSED_PAD src0_sel:WORD_1 src1_sel:DWORD
	v_mul_f16_sdwa v59, v17, v31 dst_sel:DWORD dst_unused:UNUSED_PAD src0_sel:WORD_1 src1_sel:DWORD
	;; [unrolled: 1-line block ×5, first 2 shown]
	v_fmac_f16_e32 v57, v16, v52
	v_mul_f16_sdwa v52, v19, v35 dst_sel:DWORD dst_unused:UNUSED_PAD src0_sel:WORD_1 src1_sel:DWORD
	v_fmac_f16_e32 v59, v17, v53
	v_mul_f16_sdwa v53, v18, v54 dst_sel:DWORD dst_unused:UNUSED_PAD src0_sel:WORD_1 src1_sel:DWORD
	;; [unrolled: 2-line block ×4, first 2 shown]
	v_fma_f16 v16, v16, v39, -v58
	v_fma_f16 v18, v18, v33, -v53
	;; [unrolled: 1-line block ×3, first 2 shown]
	v_mul_f16_sdwa v33, v29, v25 dst_sel:DWORD dst_unused:UNUSED_PAD src0_sel:DWORD src1_sel:WORD_1
	v_mul_f16_sdwa v35, v24, v56 dst_sel:DWORD dst_unused:UNUSED_PAD src0_sel:WORD_1 src1_sel:DWORD
	v_mul_f16_sdwa v39, v46, v25 dst_sel:DWORD dst_unused:UNUSED_PAD src0_sel:DWORD src1_sel:WORD_1
	v_fma_f16 v17, v17, v31, -v60
	v_lshrrev_b32_e32 v31, 16, v45
	v_fmac_f16_e32 v55, v24, v56
	v_mul_f16_sdwa v53, v47, v20 dst_sel:DWORD dst_unused:UNUSED_PAD src0_sel:DWORD src1_sel:WORD_1
	v_fmac_f16_e32 v33, v46, v25
	v_mul_f16_sdwa v46, v30, v20 dst_sel:DWORD dst_unused:UNUSED_PAD src0_sel:DWORD src1_sel:WORD_1
	v_fma_f16 v24, v24, v37, -v35
	v_fma_f16 v25, v29, v25, -v39
	v_mul_f16_sdwa v29, v48, v21 dst_sel:DWORD dst_unused:UNUSED_PAD src0_sel:DWORD src1_sel:WORD_1
	v_mul_f16_sdwa v35, v32, v21 dst_sel:DWORD dst_unused:UNUSED_PAD src0_sel:DWORD src1_sel:WORD_1
	;; [unrolled: 1-line block ×3, first 2 shown]
	v_fma_f16 v30, v30, v20, -v53
	v_mul_f16_sdwa v39, v34, v22 dst_sel:DWORD dst_unused:UNUSED_PAD src0_sel:DWORD src1_sel:WORD_1
	v_fma_f16 v29, v32, v21, -v29
	v_mul_f16_sdwa v32, v50, v23 dst_sel:DWORD dst_unused:UNUSED_PAD src0_sel:DWORD src1_sel:WORD_1
	v_mul_f16_sdwa v53, v36, v23 dst_sel:DWORD dst_unused:UNUSED_PAD src0_sel:DWORD src1_sel:WORD_1
	v_fma_f16 v34, v34, v22, -v37
	v_mul_f16_sdwa v37, v51, v26 dst_sel:DWORD dst_unused:UNUSED_PAD src0_sel:DWORD src1_sel:WORD_1
	v_mul_f16_sdwa v54, v28, v26 dst_sel:DWORD dst_unused:UNUSED_PAD src0_sel:DWORD src1_sel:WORD_1
	v_fmac_f16_e32 v46, v47, v20
	v_mul_f16_sdwa v20, v31, v27 dst_sel:DWORD dst_unused:UNUSED_PAD src0_sel:DWORD src1_sel:WORD_1
	v_fmac_f16_e32 v35, v48, v21
	;; [unrolled: 2-line block ×3, first 2 shown]
	v_fma_f16 v22, v36, v23, -v32
	v_fmac_f16_e32 v53, v50, v23
	v_fma_f16 v23, v28, v26, -v37
	v_fmac_f16_e32 v54, v51, v26
	;; [unrolled: 2-line block ×3, first 2 shown]
	v_add_f16_e32 v26, v16, v25
	v_add_f16_e32 v27, v57, v33
	v_sub_f16_e32 v16, v16, v25
	v_sub_f16_e32 v25, v57, v33
	v_add_f16_e32 v28, v17, v24
	v_add_f16_e32 v31, v59, v55
	v_sub_f16_e32 v17, v17, v24
	v_add_f16_e32 v32, v18, v19
	v_add_f16_e32 v33, v61, v52
	v_sub_f16_e32 v18, v19, v18
	v_sub_f16_e32 v24, v59, v55
	;; [unrolled: 1-line block ×3, first 2 shown]
	v_add_f16_e32 v36, v30, v20
	v_add_f16_e32 v37, v46, v21
	v_sub_f16_e32 v20, v30, v20
	v_add_f16_e32 v30, v29, v23
	v_add_f16_e32 v45, v35, v54
	v_sub_f16_e32 v21, v46, v21
	v_sub_f16_e32 v23, v29, v23
	;; [unrolled: 1-line block ×3, first 2 shown]
	v_add_f16_e32 v35, v34, v22
	v_add_f16_e32 v46, v39, v53
	v_sub_f16_e32 v22, v22, v34
	v_sub_f16_e32 v34, v53, v39
	v_add_f16_e32 v39, v28, v26
	v_add_f16_e32 v47, v31, v27
	v_sub_f16_e32 v49, v31, v27
	v_sub_f16_e32 v27, v27, v33
	v_sub_f16_e32 v31, v33, v31
	v_add_f16_e32 v50, v18, v17
	v_sub_f16_e32 v48, v28, v26
	v_sub_f16_e32 v26, v26, v32
	v_sub_f16_e32 v28, v32, v28
	;; [unrolled: 4-line block ×3, first 2 shown]
	v_sub_f16_e32 v24, v24, v25
	v_add_f16_e32 v54, v30, v36
	v_add_f16_e32 v55, v45, v37
	v_sub_f16_e32 v18, v16, v18
	v_add_f16_e32 v32, v32, v39
	v_add_f16_e32 v33, v33, v47
	;; [unrolled: 1-line block ×3, first 2 shown]
	v_mul_f16_e32 v27, 0x3a52, v27
	v_mul_f16_e32 v50, 0x2b26, v31
	v_sub_f16_e32 v56, v30, v36
	v_sub_f16_e32 v57, v45, v37
	;; [unrolled: 1-line block ×5, first 2 shown]
	v_add_f16_e32 v58, v22, v23
	v_add_f16_e32 v59, v34, v29
	v_sub_f16_e32 v39, v34, v29
	v_sub_f16_e32 v29, v29, v21
	v_mul_f16_e32 v26, 0x3a52, v26
	v_mul_f16_e32 v47, 0x2b26, v28
	v_sub_f16_e32 v19, v25, v19
	v_sub_f16_e32 v36, v36, v35
	;; [unrolled: 1-line block ×3, first 2 shown]
	v_add_f16_e32 v25, v51, v25
	v_mul_f16_e32 v51, 0xb846, v52
	v_mul_f16_e32 v52, 0xb846, v53
	;; [unrolled: 1-line block ×3, first 2 shown]
	v_add_f16_e32 v35, v35, v54
	v_mul_f16_e32 v54, 0x3b00, v24
	v_add_f16_e32 v46, v46, v55
	v_sub_f16_e32 v23, v23, v20
	v_fmamk_f16 v31, v31, 0x2b26, v27
	v_fma_f16 v50, v49, 0x39e0, -v50
	v_fma_f16 v27, v49, 0xb9e0, -v27
	v_add_f16_e32 v49, v32, v44
	v_add_f16_sdwa v44, v33, v44 dst_sel:DWORD dst_unused:UNUSED_PAD src0_sel:DWORD src1_sel:WORD_1
	v_sub_f16_e32 v22, v20, v22
	v_sub_f16_e32 v34, v21, v34
	v_add_f16_e32 v20, v58, v20
	v_mul_f16_e32 v37, 0x3a52, v37
	v_mul_f16_e32 v55, 0x2b26, v30
	v_mul_f16_e32 v58, 0x2b26, v45
	v_mul_f16_e32 v39, 0xb846, v39
	v_fmamk_f16 v28, v28, 0x2b26, v26
	v_fma_f16 v47, v48, 0x39e0, -v47
	v_fma_f16 v26, v48, 0xb9e0, -v26
	v_mul_f16_e32 v48, 0x3b00, v29
	v_add_f16_e32 v21, v59, v21
	v_mul_f16_e32 v36, 0x3a52, v36
	v_mul_f16_e32 v59, 0xb846, v60
	v_fma_f16 v17, v17, 0x3b00, -v51
	v_fmamk_f16 v51, v18, 0x3574, v51
	v_fma_f16 v24, v24, 0x3b00, -v52
	v_fmamk_f16 v52, v19, 0x3574, v52
	v_fma_f16 v18, v18, 0xb574, -v53
	v_fma_f16 v19, v19, 0xb574, -v54
	v_add_f16_e32 v53, v35, v38
	v_add_f16_sdwa v38, v46, v38 dst_sel:DWORD dst_unused:UNUSED_PAD src0_sel:DWORD src1_sel:WORD_1
	v_mul_f16_e32 v60, 0x3b00, v23
	v_fmamk_f16 v32, v32, 0xbcab, v49
	v_fmamk_f16 v33, v33, 0xbcab, v44
	;; [unrolled: 1-line block ×3, first 2 shown]
	v_fma_f16 v54, v56, 0x39e0, -v55
	v_fma_f16 v55, v57, 0x39e0, -v58
	;; [unrolled: 1-line block ×3, first 2 shown]
	v_fmamk_f16 v57, v34, 0x3574, v39
	v_fma_f16 v29, v29, 0x3b00, -v39
	v_fma_f16 v34, v34, 0xb574, -v48
	v_fmamk_f16 v30, v30, 0x2b26, v36
	v_fma_f16 v36, v56, 0xb9e0, -v36
	v_fmamk_f16 v56, v22, 0x3574, v59
	v_fmac_f16_e32 v51, 0x370e, v16
	v_fmac_f16_e32 v52, 0x370e, v25
	;; [unrolled: 1-line block ×6, first 2 shown]
	v_fmamk_f16 v16, v35, 0xbcab, v53
	v_fmamk_f16 v25, v46, 0xbcab, v38
	v_fma_f16 v23, v23, 0x3b00, -v59
	v_fma_f16 v22, v22, 0xb574, -v60
	v_add_f16_e32 v28, v28, v32
	v_add_f16_e32 v31, v31, v33
	v_fmac_f16_e32 v57, 0x370e, v21
	v_fmac_f16_e32 v29, 0x370e, v21
	;; [unrolled: 1-line block ×3, first 2 shown]
	v_pack_b32_f16 v21, v53, v38
	v_add_f16_e32 v35, v47, v32
	v_add_f16_e32 v38, v50, v33
	;; [unrolled: 1-line block ×4, first 2 shown]
	v_fmac_f16_e32 v56, 0x370e, v20
	v_add_f16_e32 v30, v30, v16
	v_add_f16_e32 v32, v45, v25
	v_fmac_f16_e32 v23, 0x370e, v20
	v_fmac_f16_e32 v22, 0x370e, v20
	v_add_f16_e32 v33, v54, v16
	v_add_f16_e32 v39, v55, v25
	;; [unrolled: 1-line block ×5, first 2 shown]
	v_sub_f16_e32 v37, v31, v51
	v_pack_b32_f16 v20, v49, v44
	v_add_f16_e32 v44, v19, v26
	v_sub_f16_e32 v45, v27, v18
	v_sub_f16_e32 v46, v35, v24
	v_add_f16_e32 v47, v17, v38
	v_add_f16_e32 v24, v24, v35
	v_sub_f16_e32 v17, v38, v17
	v_sub_f16_e32 v19, v26, v19
	v_add_f16_e32 v18, v18, v27
	v_sub_f16_e32 v26, v28, v52
	v_add_f16_e32 v27, v51, v31
	v_add_f16_e32 v28, v57, v30
	v_sub_f16_e32 v31, v32, v56
	v_add_f16_e32 v35, v34, v16
	v_sub_f16_e32 v38, v25, v22
	v_sub_f16_e32 v48, v33, v29
	v_add_f16_e32 v49, v23, v39
	v_add_f16_e32 v29, v29, v33
	v_sub_f16_e32 v23, v39, v23
	v_sub_f16_e32 v16, v16, v34
	v_add_f16_e32 v22, v22, v25
	v_sub_f16_e32 v25, v30, v57
	v_add_f16_e32 v30, v56, v32
	v_pack_b32_f16 v32, v36, v37
	v_pack_b32_f16 v33, v44, v45
	;; [unrolled: 1-line block ×12, first 2 shown]
	ds_write2_b32 v42, v20, v32 offset1:4
	ds_write2_b32 v42, v33, v34 offset0:8 offset1:12
	ds_write2_b32 v42, v17, v18 offset0:16 offset1:20
	ds_write_b32 v42, v19 offset:96
	ds_write2_b32 v41, v21, v24 offset1:4
	ds_write2_b32 v41, v26, v27 offset0:8 offset1:12
	ds_write2_b32 v41, v23, v16 offset0:16 offset1:20
	ds_write_b32 v41, v22 offset:96
	v_mul_u32_u24_sdwa v20, v12, v40 dst_sel:DWORD dst_unused:UNUSED_PAD src0_sel:BYTE_0 src1_sel:DWORD
	s_waitcnt lgkmcnt(0)
	s_barrier
	buffer_gl0_inv
	s_clause 0x1
	global_load_dwordx4 v[16:19], v43, s[8:9] offset:104
	global_load_dwordx2 v[24:25], v43, s[8:9] offset:120
	v_lshlrev_b32_e32 v26, 2, v20
	s_clause 0x1
	global_load_dwordx4 v[20:23], v26, s[8:9] offset:104
	global_load_dwordx2 v[26:27], v26, s[8:9] offset:120
	v_and_b32_e32 v40, 0xffff, v14
	ds_read2_b32 v[28:29], v11 offset0:54 offset1:152
	ds_read2_b32 v[30:31], v9 offset0:38 offset1:136
	;; [unrolled: 1-line block ×5, first 2 shown]
	v_and_b32_e32 v41, 0xffff, v15
	ds_read_b32 v42, v1 offset:5096
	ds_read2_b32 v[14:15], v1 offset0:98 offset1:196
	v_mov_b32_e32 v38, 2
	v_mad_u32_u24 v40, 0x310, v40, 0
	v_mul_u32_u24_e32 v39, 6, v0
	v_mad_u32_u24 v41, 0x310, v41, 0
	v_lshlrev_b32_sdwa v13, v38, v13 dst_sel:DWORD dst_unused:UNUSED_PAD src0_sel:DWORD src1_sel:BYTE_0
	v_lshlrev_b32_sdwa v12, v38, v12 dst_sel:DWORD dst_unused:UNUSED_PAD src0_sel:DWORD src1_sel:BYTE_0
	ds_read_b32 v38, v7
	v_lshlrev_b32_e32 v39, 2, v39
	s_waitcnt vmcnt(0) lgkmcnt(0)
	v_add3_u32 v13, v40, v13, v8
	v_add3_u32 v8, v41, v12, v8
	s_barrier
	v_lshrrev_b32_e32 v12, 16, v29
	v_lshrrev_b32_e32 v40, 16, v30
	;; [unrolled: 1-line block ×12, first 2 shown]
	buffer_gl0_inv
	v_mul_f16_sdwa v53, v16, v15 dst_sel:DWORD dst_unused:UNUSED_PAD src0_sel:WORD_1 src1_sel:DWORD
	v_mul_f16_sdwa v55, v17, v31 dst_sel:DWORD dst_unused:UNUSED_PAD src0_sel:WORD_1 src1_sel:DWORD
	;; [unrolled: 1-line block ×10, first 2 shown]
	v_fmac_f16_e32 v53, v16, v47
	v_mul_f16_sdwa v47, v12, v25 dst_sel:DWORD dst_unused:UNUSED_PAD src0_sel:DWORD src1_sel:WORD_1
	v_fmac_f16_e32 v55, v17, v48
	v_mul_f16_sdwa v48, v29, v25 dst_sel:DWORD dst_unused:UNUSED_PAD src0_sel:DWORD src1_sel:WORD_1
	;; [unrolled: 2-line block ×4, first 2 shown]
	v_fma_f16 v15, v16, v15, -v52
	v_fma_f16 v16, v17, v31, -v54
	v_fma_f16 v17, v18, v33, -v56
	v_fma_f16 v18, v19, v35, -v58
	v_mul_f16_sdwa v19, v41, v21 dst_sel:DWORD dst_unused:UNUSED_PAD src0_sel:DWORD src1_sel:WORD_1
	v_mul_f16_sdwa v31, v32, v21 dst_sel:DWORD dst_unused:UNUSED_PAD src0_sel:DWORD src1_sel:WORD_1
	;; [unrolled: 1-line block ×4, first 2 shown]
	v_fmac_f16_e32 v61, v24, v51
	v_mul_f16_sdwa v51, v44, v23 dst_sel:DWORD dst_unused:UNUSED_PAD src0_sel:DWORD src1_sel:WORD_1
	v_fmac_f16_e32 v48, v12, v25
	v_mul_f16_sdwa v12, v36, v23 dst_sel:DWORD dst_unused:UNUSED_PAD src0_sel:DWORD src1_sel:WORD_1
	v_fma_f16 v24, v24, v37, -v60
	v_fma_f16 v25, v29, v25, -v47
	v_mul_f16_sdwa v29, v45, v26 dst_sel:DWORD dst_unused:UNUSED_PAD src0_sel:DWORD src1_sel:WORD_1
	v_mul_f16_sdwa v37, v28, v26 dst_sel:DWORD dst_unused:UNUSED_PAD src0_sel:DWORD src1_sel:WORD_1
	v_fma_f16 v30, v30, v20, -v49
	v_mul_f16_sdwa v47, v46, v27 dst_sel:DWORD dst_unused:UNUSED_PAD src0_sel:DWORD src1_sel:WORD_1
	v_mul_f16_sdwa v49, v42, v27 dst_sel:DWORD dst_unused:UNUSED_PAD src0_sel:DWORD src1_sel:WORD_1
	v_fmac_f16_e32 v50, v40, v20
	v_fma_f16 v19, v32, v21, -v19
	v_fmac_f16_e32 v31, v41, v21
	v_fma_f16 v20, v34, v22, -v33
	;; [unrolled: 2-line block ×5, first 2 shown]
	v_fmac_f16_e32 v49, v46, v27
	v_add_f16_e32 v26, v15, v25
	v_add_f16_e32 v27, v53, v48
	;; [unrolled: 1-line block ×4, first 2 shown]
	v_sub_f16_e32 v15, v15, v25
	v_sub_f16_e32 v25, v53, v48
	;; [unrolled: 1-line block ×4, first 2 shown]
	v_add_f16_e32 v32, v17, v18
	v_add_f16_e32 v33, v57, v59
	v_sub_f16_e32 v17, v18, v17
	v_sub_f16_e32 v18, v59, v57
	v_add_f16_e32 v34, v30, v23
	v_add_f16_e32 v36, v50, v49
	;; [unrolled: 1-line block ×4, first 2 shown]
	v_sub_f16_e32 v19, v19, v22
	v_sub_f16_e32 v22, v31, v37
	v_add_f16_e32 v31, v20, v21
	v_add_f16_e32 v37, v35, v12
	v_sub_f16_e32 v20, v21, v20
	v_sub_f16_e32 v12, v12, v35
	v_add_f16_e32 v21, v28, v26
	v_add_f16_e32 v35, v29, v27
	v_sub_f16_e32 v23, v30, v23
	v_sub_f16_e32 v30, v50, v49
	;; [unrolled: 1-line block ×8, first 2 shown]
	v_add_f16_e32 v44, v17, v16
	v_add_f16_e32 v45, v18, v24
	v_sub_f16_e32 v46, v17, v16
	v_sub_f16_e32 v47, v18, v24
	;; [unrolled: 1-line block ×4, first 2 shown]
	v_add_f16_e32 v48, v40, v34
	v_add_f16_e32 v49, v41, v36
	;; [unrolled: 1-line block ×4, first 2 shown]
	v_sub_f16_e32 v50, v40, v34
	v_sub_f16_e32 v40, v31, v40
	v_add_f16_e32 v53, v12, v22
	v_sub_f16_e32 v55, v12, v22
	v_sub_f16_e32 v22, v22, v30
	;; [unrolled: 1-line block ×8, first 2 shown]
	v_add_f16_e32 v52, v20, v19
	v_sub_f16_e32 v54, v20, v19
	v_add_f16_e32 v15, v44, v15
	v_add_f16_e32 v25, v45, v25
	v_mul_f16_e32 v26, 0x3a52, v26
	v_mul_f16_e32 v27, 0x3a52, v27
	;; [unrolled: 1-line block ×8, first 2 shown]
	v_add_f16_e32 v31, v31, v48
	v_add_f16_e32 v37, v37, v49
	v_sub_f16_e32 v19, v19, v23
	v_add_f16_e32 v56, v21, v38
	v_add_f16_sdwa v38, v32, v38 dst_sel:DWORD dst_unused:UNUSED_PAD src0_sel:DWORD src1_sel:WORD_1
	v_sub_f16_e32 v12, v30, v12
	v_add_f16_e32 v30, v53, v30
	v_mul_f16_e32 v48, 0x2b26, v40
	v_mul_f16_e32 v53, 0xb846, v55
	;; [unrolled: 1-line block ×3, first 2 shown]
	v_sub_f16_e32 v20, v23, v20
	v_add_f16_e32 v23, v52, v23
	v_mul_f16_e32 v34, 0x3a52, v34
	v_mul_f16_e32 v36, 0x3a52, v36
	;; [unrolled: 1-line block ×3, first 2 shown]
	v_fmamk_f16 v28, v28, 0x2b26, v26
	v_fmamk_f16 v29, v29, 0x2b26, v27
	v_fma_f16 v33, v42, 0x39e0, -v33
	v_fma_f16 v35, v43, 0x39e0, -v35
	;; [unrolled: 1-line block ×4, first 2 shown]
	v_fmamk_f16 v42, v17, 0x3574, v44
	v_fmamk_f16 v43, v18, 0x3574, v45
	v_fma_f16 v16, v16, 0x3b00, -v44
	v_fma_f16 v24, v24, 0x3b00, -v45
	;; [unrolled: 1-line block ×4, first 2 shown]
	v_add_f16_e32 v44, v31, v14
	v_add_f16_sdwa v14, v37, v14 dst_sel:DWORD dst_unused:UNUSED_PAD src0_sel:DWORD src1_sel:WORD_1
	v_mul_f16_e32 v49, 0x2b26, v41
	v_mul_f16_e32 v54, 0x3b00, v19
	v_fmamk_f16 v21, v21, 0xbcab, v56
	v_fmamk_f16 v32, v32, 0xbcab, v38
	v_fma_f16 v45, v50, 0x39e0, -v48
	v_fmamk_f16 v48, v12, 0x3574, v53
	v_fma_f16 v22, v22, 0x3b00, -v53
	v_fma_f16 v12, v12, 0xb574, -v55
	v_fmamk_f16 v40, v40, 0x2b26, v34
	v_fmamk_f16 v41, v41, 0x2b26, v36
	;; [unrolled: 1-line block ×3, first 2 shown]
	v_fmac_f16_e32 v42, 0x370e, v15
	v_fmac_f16_e32 v43, 0x370e, v25
	;; [unrolled: 1-line block ×6, first 2 shown]
	v_fmamk_f16 v15, v31, 0xbcab, v44
	v_fmamk_f16 v25, v37, 0xbcab, v14
	v_fma_f16 v46, v51, 0x39e0, -v49
	v_fma_f16 v34, v50, 0xb9e0, -v34
	;; [unrolled: 1-line block ×5, first 2 shown]
	v_add_f16_e32 v28, v28, v21
	v_add_f16_e32 v29, v29, v32
	v_fmac_f16_e32 v48, 0x370e, v30
	v_fmac_f16_e32 v22, 0x370e, v30
	;; [unrolled: 1-line block ×3, first 2 shown]
	v_add_f16_e32 v30, v33, v21
	v_add_f16_e32 v31, v35, v32
	;; [unrolled: 1-line block ×4, first 2 shown]
	v_fmac_f16_e32 v47, 0x370e, v23
	v_add_f16_e32 v27, v40, v15
	v_add_f16_e32 v32, v41, v25
	v_fmac_f16_e32 v19, 0x370e, v23
	v_fmac_f16_e32 v20, 0x370e, v23
	v_add_f16_e32 v33, v45, v15
	v_add_f16_e32 v35, v46, v25
	;; [unrolled: 1-line block ×5, first 2 shown]
	v_sub_f16_e32 v36, v29, v42
	v_pack_b32_f16 v23, v56, v38
	v_add_f16_e32 v37, v18, v21
	v_sub_f16_e32 v38, v26, v17
	v_sub_f16_e32 v40, v30, v24
	v_add_f16_e32 v41, v16, v31
	v_add_f16_e32 v24, v24, v30
	v_sub_f16_e32 v16, v31, v16
	v_sub_f16_e32 v18, v21, v18
	v_add_f16_e32 v17, v17, v26
	v_sub_f16_e32 v21, v28, v43
	v_add_f16_e32 v26, v42, v29
	v_add_f16_e32 v28, v48, v27
	v_sub_f16_e32 v29, v32, v47
	v_add_f16_e32 v30, v12, v15
	v_sub_f16_e32 v31, v25, v20
	v_sub_f16_e32 v42, v33, v22
	v_add_f16_e32 v43, v19, v35
	v_add_f16_e32 v22, v22, v33
	v_sub_f16_e32 v19, v35, v19
	v_sub_f16_e32 v12, v15, v12
	v_add_f16_e32 v15, v20, v25
	v_sub_f16_e32 v20, v27, v48
	v_add_f16_e32 v25, v47, v32
	v_pack_b32_f16 v27, v34, v36
	v_pack_b32_f16 v32, v37, v38
	;; [unrolled: 1-line block ×13, first 2 shown]
	ds_write2_b32 v13, v23, v27 offset1:28
	ds_write2_b32 v13, v32, v33 offset0:56 offset1:84
	ds_write2_b32 v13, v16, v17 offset0:112 offset1:140
	ds_write_b32 v13, v18 offset:672
	ds_write2_b32 v8, v14, v21 offset1:28
	ds_write2_b32 v8, v24, v26 offset0:56 offset1:84
	ds_write2_b32 v8, v19, v12 offset0:112 offset1:140
	ds_write_b32 v8, v15 offset:672
	v_add_co_u32 v8, s0, s8, v39
	v_add_co_ci_u32_e64 v16, null, s9, 0, s0
	s_waitcnt lgkmcnt(0)
	v_add_co_u32 v20, s0, 0x930, v8
	v_add_co_ci_u32_e64 v21, s0, 0, v16, s0
	s_barrier
	buffer_gl0_inv
	s_clause 0x3
	global_load_dwordx4 v[12:15], v39, s[8:9] offset:776
	global_load_dwordx2 v[22:23], v39, s[8:9] offset:792
	global_load_dwordx4 v[16:19], v[20:21], off offset:776
	global_load_dwordx2 v[20:21], v[20:21], off offset:792
	ds_read2_b32 v[24:25], v11 offset0:54 offset1:152
	ds_read2_b32 v[8:9], v9 offset0:38 offset1:136
	;; [unrolled: 1-line block ×5, first 2 shown]
	ds_read_b32 v30, v1 offset:5096
	ds_read2_b32 v[28:29], v1 offset0:98 offset1:196
	ds_read_b32 v7, v7
	v_add_nc_u32_e32 v31, 0x300, v1
	v_add_nc_u32_e32 v32, 0x900, v1
	;; [unrolled: 1-line block ×3, first 2 shown]
	s_waitcnt vmcnt(0) lgkmcnt(0)
	s_barrier
	buffer_gl0_inv
	v_lshrrev_b32_e32 v34, 16, v25
	v_lshrrev_b32_e32 v42, 16, v9
	;; [unrolled: 1-line block ×12, first 2 shown]
	v_mul_f16_sdwa v54, v22, v45 dst_sel:DWORD dst_unused:UNUSED_PAD src0_sel:WORD_1 src1_sel:DWORD
	v_mul_f16_sdwa v46, v12, v41 dst_sel:DWORD dst_unused:UNUSED_PAD src0_sel:WORD_1 src1_sel:DWORD
	;; [unrolled: 1-line block ×10, first 2 shown]
	v_mul_f16_sdwa v56, v34, v23 dst_sel:DWORD dst_unused:UNUSED_PAD src0_sel:DWORD src1_sel:WORD_1
	v_mul_f16_sdwa v57, v25, v23 dst_sel:DWORD dst_unused:UNUSED_PAD src0_sel:DWORD src1_sel:WORD_1
	;; [unrolled: 1-line block ×6, first 2 shown]
	v_fmac_f16_e32 v47, v12, v41
	v_mul_f16_sdwa v41, v37, v18 dst_sel:DWORD dst_unused:UNUSED_PAD src0_sel:DWORD src1_sel:WORD_1
	v_fmac_f16_e32 v49, v13, v42
	v_mul_f16_sdwa v42, v26, v18 dst_sel:DWORD dst_unused:UNUSED_PAD src0_sel:DWORD src1_sel:WORD_1
	;; [unrolled: 2-line block ×4, first 2 shown]
	v_fma_f16 v12, v12, v29, -v46
	v_fma_f16 v9, v13, v9, -v48
	;; [unrolled: 1-line block ×4, first 2 shown]
	v_mul_f16_sdwa v14, v39, v20 dst_sel:DWORD dst_unused:UNUSED_PAD src0_sel:DWORD src1_sel:WORD_1
	v_mul_f16_sdwa v15, v24, v20 dst_sel:DWORD dst_unused:UNUSED_PAD src0_sel:DWORD src1_sel:WORD_1
	;; [unrolled: 1-line block ×4, first 2 shown]
	v_fma_f16 v5, v22, v5, -v54
	v_fmac_f16_e32 v55, v22, v45
	v_fma_f16 v22, v25, v23, -v56
	v_fmac_f16_e32 v57, v34, v23
	;; [unrolled: 2-line block ×8, first 2 shown]
	v_add_f16_e32 v18, v12, v22
	v_add_f16_e32 v19, v47, v57
	v_sub_f16_e32 v12, v12, v22
	v_add_f16_e32 v21, v9, v5
	v_add_f16_e32 v22, v49, v55
	v_sub_f16_e32 v20, v47, v57
	v_sub_f16_e32 v5, v9, v5
	;; [unrolled: 1-line block ×3, first 2 shown]
	v_add_f16_e32 v23, v11, v13
	v_add_f16_e32 v24, v51, v53
	v_sub_f16_e32 v11, v13, v11
	v_sub_f16_e32 v13, v53, v51
	v_add_f16_e32 v25, v8, v17
	v_add_f16_e32 v26, v59, v29
	v_sub_f16_e32 v8, v8, v17
	v_sub_f16_e32 v17, v59, v29
	;; [unrolled: 4-line block ×3, first 2 shown]
	v_add_f16_e32 v15, v16, v4
	v_sub_f16_e32 v4, v4, v16
	v_sub_f16_e32 v16, v44, v42
	v_add_f16_e32 v34, v21, v18
	v_add_f16_e32 v35, v22, v19
	;; [unrolled: 1-line block ×3, first 2 shown]
	v_sub_f16_e32 v36, v21, v18
	v_sub_f16_e32 v37, v22, v19
	;; [unrolled: 1-line block ×6, first 2 shown]
	v_add_f16_e32 v38, v11, v5
	v_add_f16_e32 v39, v13, v9
	v_sub_f16_e32 v40, v11, v5
	v_sub_f16_e32 v41, v13, v9
	;; [unrolled: 1-line block ×4, first 2 shown]
	v_add_f16_e32 v42, v27, v25
	v_add_f16_e32 v43, v29, v26
	v_sub_f16_e32 v44, v27, v25
	v_sub_f16_e32 v27, v15, v27
	v_add_f16_e32 v47, v16, v14
	v_sub_f16_e32 v49, v16, v14
	v_sub_f16_e32 v14, v14, v17
	v_add_f16_e32 v23, v23, v34
	v_add_f16_e32 v24, v24, v35
	v_sub_f16_e32 v11, v12, v11
	v_sub_f16_e32 v13, v20, v13
	;; [unrolled: 1-line block ×6, first 2 shown]
	v_add_f16_e32 v46, v4, v10
	v_sub_f16_e32 v48, v4, v10
	v_sub_f16_e32 v16, v17, v16
	;; [unrolled: 1-line block ×3, first 2 shown]
	v_add_f16_e32 v12, v38, v12
	v_add_f16_e32 v20, v39, v20
	v_mul_f16_e32 v18, 0x3a52, v18
	v_mul_f16_e32 v19, 0x3a52, v19
	;; [unrolled: 1-line block ×8, first 2 shown]
	v_add_f16_e32 v15, v15, v42
	v_add_f16_e32 v30, v30, v43
	;; [unrolled: 1-line block ×3, first 2 shown]
	v_mul_f16_e32 v42, 0x2b26, v27
	v_mul_f16_e32 v47, 0xb846, v49
	;; [unrolled: 1-line block ×3, first 2 shown]
	v_add_f16_e32 v50, v23, v7
	v_add_f16_sdwa v7, v24, v7 dst_sel:DWORD dst_unused:UNUSED_PAD src0_sel:DWORD src1_sel:WORD_1
	v_sub_f16_e32 v4, v8, v4
	v_add_f16_e32 v8, v46, v8
	v_mul_f16_e32 v25, 0x3a52, v25
	v_mul_f16_e32 v26, 0x3a52, v26
	v_mul_f16_e32 v43, 0x2b26, v29
	v_mul_f16_e32 v46, 0xb846, v48
	v_mul_f16_e32 v48, 0x3b00, v10
	v_fmamk_f16 v21, v21, 0x2b26, v18
	v_fmamk_f16 v22, v22, 0x2b26, v19
	v_fma_f16 v34, v36, 0x39e0, -v34
	v_fma_f16 v35, v37, 0x39e0, -v35
	;; [unrolled: 1-line block ×4, first 2 shown]
	v_fmamk_f16 v36, v11, 0x3574, v38
	v_fmamk_f16 v37, v13, 0x3574, v39
	v_fma_f16 v5, v5, 0x3b00, -v38
	v_fma_f16 v9, v9, 0x3b00, -v39
	;; [unrolled: 1-line block ×4, first 2 shown]
	v_add_f16_e32 v38, v15, v28
	v_add_f16_sdwa v28, v30, v28 dst_sel:DWORD dst_unused:UNUSED_PAD src0_sel:DWORD src1_sel:WORD_1
	v_fma_f16 v39, v44, 0x39e0, -v42
	v_fmamk_f16 v42, v16, 0x3574, v47
	v_fma_f16 v14, v14, 0x3b00, -v47
	v_fma_f16 v16, v16, 0xb574, -v49
	v_fmamk_f16 v23, v23, 0xbcab, v50
	v_fmamk_f16 v24, v24, 0xbcab, v7
	;; [unrolled: 1-line block ×4, first 2 shown]
	v_fma_f16 v40, v45, 0x39e0, -v43
	v_fma_f16 v25, v44, 0xb9e0, -v25
	;; [unrolled: 1-line block ×3, first 2 shown]
	v_fmamk_f16 v41, v4, 0x3574, v46
	v_fma_f16 v10, v10, 0x3b00, -v46
	v_fma_f16 v4, v4, 0xb574, -v48
	v_fmac_f16_e32 v36, 0x370e, v12
	v_fmac_f16_e32 v37, 0x370e, v20
	v_fmac_f16_e32 v5, 0x370e, v12
	v_fmac_f16_e32 v9, 0x370e, v20
	v_fmac_f16_e32 v11, 0x370e, v12
	v_fmac_f16_e32 v13, 0x370e, v20
	v_fmamk_f16 v12, v15, 0xbcab, v38
	v_fmamk_f16 v15, v30, 0xbcab, v28
	v_fmac_f16_e32 v42, 0x370e, v17
	v_fmac_f16_e32 v14, 0x370e, v17
	;; [unrolled: 1-line block ×3, first 2 shown]
	v_add_f16_e32 v17, v21, v23
	v_add_f16_e32 v20, v22, v24
	;; [unrolled: 1-line block ×6, first 2 shown]
	v_fmac_f16_e32 v41, 0x370e, v8
	v_fmac_f16_e32 v10, 0x370e, v8
	;; [unrolled: 1-line block ×3, first 2 shown]
	v_pack_b32_f16 v8, v38, v28
	v_add_f16_e32 v23, v27, v12
	v_add_f16_e32 v24, v29, v15
	v_add_f16_e32 v27, v39, v12
	v_add_f16_e32 v28, v40, v15
	v_add_f16_e32 v12, v25, v12
	v_add_f16_e32 v15, v26, v15
	v_add_f16_e32 v25, v37, v17
	v_sub_f16_e32 v26, v20, v36
	v_add_f16_e32 v29, v13, v18
	v_sub_f16_e32 v30, v19, v11
	v_sub_f16_e32 v34, v21, v9
	v_add_f16_e32 v35, v5, v22
	v_add_f16_e32 v9, v9, v21
	v_sub_f16_e32 v5, v22, v5
	v_sub_f16_e32 v13, v18, v13
	v_add_f16_e32 v11, v11, v19
	v_sub_f16_e32 v17, v17, v37
	v_add_f16_e32 v18, v36, v20
	v_add_f16_e32 v21, v16, v12
	v_sub_f16_e32 v22, v15, v4
	v_sub_f16_e32 v12, v12, v16
	v_add_f16_e32 v4, v4, v15
	v_pack_b32_f16 v15, v25, v26
	v_pack_b32_f16 v16, v29, v30
	;; [unrolled: 1-line block ×7, first 2 shown]
	v_add_f16_e32 v19, v42, v23
	v_sub_f16_e32 v20, v24, v41
	v_sub_f16_e32 v36, v27, v14
	v_add_f16_e32 v37, v10, v28
	v_add_f16_e32 v14, v14, v27
	v_sub_f16_e32 v10, v28, v10
	v_sub_f16_e32 v13, v23, v42
	v_add_f16_e32 v17, v41, v24
	ds_write2_b32 v31, v15, v16 offset0:4 offset1:200
	ds_write2_b32 v32, v25, v5 offset0:12 offset1:208
	;; [unrolled: 1-line block ×3, first 2 shown]
	ds_write2_b32 v1, v7, v8 offset1:98
	ds_write_b16 v1, v19 offset:1176
	ds_write_b16 v1, v20 offset:1178
	;; [unrolled: 1-line block ×12, first 2 shown]
	s_waitcnt lgkmcnt(0)
	s_barrier
	buffer_gl0_inv
	s_and_saveexec_b32 s0, vcc_lo
	s_cbranch_execz .LBB0_19
; %bb.18:
	v_lshl_add_u32 v18, v0, 2, v6
	v_mov_b32_e32 v1, 0
	v_add_co_u32 v19, vcc_lo, s2, v2
	v_add_co_ci_u32_e32 v20, vcc_lo, s3, v3, vcc_lo
	ds_read2_b32 v[4:5], v18 offset1:98
	v_lshlrev_b64 v[10:11], 2, v[0:1]
	v_add_nc_u32_e32 v2, 0x62, v0
	v_mov_b32_e32 v3, v1
	v_add_nc_u32_e32 v12, 0x200, v18
	v_add_nc_u32_e32 v13, 0x400, v18
	;; [unrolled: 1-line block ×3, first 2 shown]
	v_add_co_u32 v10, vcc_lo, v19, v10
	v_add_co_ci_u32_e32 v11, vcc_lo, v20, v11, vcc_lo
	v_mov_b32_e32 v7, v1
	v_lshlrev_b64 v[2:3], 2, v[2:3]
	v_add_nc_u32_e32 v8, 0x126, v0
	v_mov_b32_e32 v9, v1
	ds_read2_b32 v[14:15], v13 offset0:136 offset1:234
	v_lshlrev_b64 v[6:7], 2, v[6:7]
	v_mov_b32_e32 v13, v1
	v_add_co_u32 v2, vcc_lo, v19, v2
	s_waitcnt lgkmcnt(1)
	global_store_dword v[10:11], v4, off
	ds_read2_b32 v[10:11], v12 offset0:68 offset1:166
	v_add_nc_u32_e32 v12, 0x188, v0
	v_lshlrev_b64 v[8:9], 2, v[8:9]
	v_add_co_ci_u32_e32 v3, vcc_lo, v20, v3, vcc_lo
	v_add_co_u32 v6, vcc_lo, v19, v6
	v_lshlrev_b64 v[12:13], 2, v[12:13]
	v_add_co_ci_u32_e32 v7, vcc_lo, v20, v7, vcc_lo
	v_add_co_u32 v8, vcc_lo, v19, v8
	v_add_co_ci_u32_e32 v9, vcc_lo, v20, v9, vcc_lo
	v_add_co_u32 v12, vcc_lo, v19, v12
	v_add_co_ci_u32_e32 v13, vcc_lo, v20, v13, vcc_lo
	v_add_nc_u32_e32 v16, 0x1ea, v0
	v_mov_b32_e32 v17, v1
	global_store_dword v[2:3], v5, off
	s_waitcnt lgkmcnt(0)
	global_store_dword v[6:7], v10, off
	global_store_dword v[8:9], v11, off
	;; [unrolled: 1-line block ×3, first 2 shown]
	v_add_nc_u32_e32 v8, 0x800, v18
	v_add_nc_u32_e32 v11, 0xc00, v18
	;; [unrolled: 1-line block ×3, first 2 shown]
	v_mov_b32_e32 v5, v1
	v_lshlrev_b64 v[2:3], 2, v[16:17]
	ds_read2_b32 v[8:9], v8 offset0:76 offset1:174
	v_add_nc_u32_e32 v6, 0x2ae, v0
	v_mov_b32_e32 v7, v1
	ds_read2_b32 v[12:13], v11 offset0:16 offset1:114
	v_lshlrev_b64 v[4:5], 2, v[4:5]
	v_add_nc_u32_e32 v10, 0x310, v0
	v_mov_b32_e32 v11, v1
	v_add_co_u32 v2, vcc_lo, v19, v2
	v_lshlrev_b64 v[6:7], 2, v[6:7]
	v_add_co_ci_u32_e32 v3, vcc_lo, v20, v3, vcc_lo
	v_add_co_u32 v4, vcc_lo, v19, v4
	v_lshlrev_b64 v[10:11], 2, v[10:11]
	v_add_co_ci_u32_e32 v5, vcc_lo, v20, v5, vcc_lo
	v_add_co_u32 v6, vcc_lo, v19, v6
	v_add_co_ci_u32_e32 v7, vcc_lo, v20, v7, vcc_lo
	v_add_co_u32 v10, vcc_lo, v19, v10
	v_add_co_ci_u32_e32 v11, vcc_lo, v20, v11, vcc_lo
	v_add_nc_u32_e32 v16, 0x372, v0
	global_store_dword v[2:3], v15, off
	s_waitcnt lgkmcnt(1)
	global_store_dword v[4:5], v8, off
	global_store_dword v[6:7], v9, off
	s_waitcnt lgkmcnt(0)
	global_store_dword v[10:11], v12, off
	v_add_nc_u32_e32 v8, 0xe00, v18
	v_add_nc_u32_e32 v4, 0x3d4, v0
	v_mov_b32_e32 v5, v1
	v_add_nc_u32_e32 v12, 0x1000, v18
	v_lshlrev_b64 v[2:3], 2, v[16:17]
	v_add_nc_u32_e32 v6, 0x436, v0
	v_mov_b32_e32 v7, v1
	ds_read2_b32 v[8:9], v8 offset0:84 offset1:182
	v_lshlrev_b64 v[4:5], 2, v[4:5]
	v_add_nc_u32_e32 v10, 0x498, v0
	v_mov_b32_e32 v11, v1
	ds_read2_b32 v[14:15], v12 offset0:152 offset1:250
	v_add_co_u32 v2, vcc_lo, v19, v2
	v_lshlrev_b64 v[6:7], 2, v[6:7]
	v_add_nc_u32_e32 v0, 0x4fa, v0
	v_add_co_ci_u32_e32 v3, vcc_lo, v20, v3, vcc_lo
	v_add_co_u32 v4, vcc_lo, v19, v4
	v_lshlrev_b64 v[10:11], 2, v[10:11]
	v_add_co_ci_u32_e32 v5, vcc_lo, v20, v5, vcc_lo
	v_add_co_u32 v6, vcc_lo, v19, v6
	v_lshlrev_b64 v[0:1], 2, v[0:1]
	v_add_co_ci_u32_e32 v7, vcc_lo, v20, v7, vcc_lo
	v_add_co_u32 v10, vcc_lo, v19, v10
	v_add_co_ci_u32_e32 v11, vcc_lo, v20, v11, vcc_lo
	v_add_co_u32 v0, vcc_lo, v19, v0
	v_add_co_ci_u32_e32 v1, vcc_lo, v20, v1, vcc_lo
	global_store_dword v[2:3], v13, off
	s_waitcnt lgkmcnt(1)
	global_store_dword v[4:5], v8, off
	global_store_dword v[6:7], v9, off
	s_waitcnt lgkmcnt(0)
	global_store_dword v[10:11], v14, off
	global_store_dword v[0:1], v15, off
.LBB0_19:
	s_endpgm
	.section	.rodata,"a",@progbits
	.p2align	6, 0x0
	.amdhsa_kernel fft_rtc_fwd_len1372_factors_2_2_7_7_7_wgs_196_tpt_98_halfLds_half_ip_CI_unitstride_sbrr_C2R_dirReg
		.amdhsa_group_segment_fixed_size 0
		.amdhsa_private_segment_fixed_size 0
		.amdhsa_kernarg_size 88
		.amdhsa_user_sgpr_count 6
		.amdhsa_user_sgpr_private_segment_buffer 1
		.amdhsa_user_sgpr_dispatch_ptr 0
		.amdhsa_user_sgpr_queue_ptr 0
		.amdhsa_user_sgpr_kernarg_segment_ptr 1
		.amdhsa_user_sgpr_dispatch_id 0
		.amdhsa_user_sgpr_flat_scratch_init 0
		.amdhsa_user_sgpr_private_segment_size 0
		.amdhsa_wavefront_size32 1
		.amdhsa_uses_dynamic_stack 0
		.amdhsa_system_sgpr_private_segment_wavefront_offset 0
		.amdhsa_system_sgpr_workgroup_id_x 1
		.amdhsa_system_sgpr_workgroup_id_y 0
		.amdhsa_system_sgpr_workgroup_id_z 0
		.amdhsa_system_sgpr_workgroup_info 0
		.amdhsa_system_vgpr_workitem_id 0
		.amdhsa_next_free_vgpr 62
		.amdhsa_next_free_sgpr 21
		.amdhsa_reserve_vcc 1
		.amdhsa_reserve_flat_scratch 0
		.amdhsa_float_round_mode_32 0
		.amdhsa_float_round_mode_16_64 0
		.amdhsa_float_denorm_mode_32 3
		.amdhsa_float_denorm_mode_16_64 3
		.amdhsa_dx10_clamp 1
		.amdhsa_ieee_mode 1
		.amdhsa_fp16_overflow 0
		.amdhsa_workgroup_processor_mode 1
		.amdhsa_memory_ordered 1
		.amdhsa_forward_progress 0
		.amdhsa_shared_vgpr_count 0
		.amdhsa_exception_fp_ieee_invalid_op 0
		.amdhsa_exception_fp_denorm_src 0
		.amdhsa_exception_fp_ieee_div_zero 0
		.amdhsa_exception_fp_ieee_overflow 0
		.amdhsa_exception_fp_ieee_underflow 0
		.amdhsa_exception_fp_ieee_inexact 0
		.amdhsa_exception_int_div_zero 0
	.end_amdhsa_kernel
	.text
.Lfunc_end0:
	.size	fft_rtc_fwd_len1372_factors_2_2_7_7_7_wgs_196_tpt_98_halfLds_half_ip_CI_unitstride_sbrr_C2R_dirReg, .Lfunc_end0-fft_rtc_fwd_len1372_factors_2_2_7_7_7_wgs_196_tpt_98_halfLds_half_ip_CI_unitstride_sbrr_C2R_dirReg
                                        ; -- End function
	.section	.AMDGPU.csdata,"",@progbits
; Kernel info:
; codeLenInByte = 9956
; NumSgprs: 23
; NumVgprs: 62
; ScratchSize: 0
; MemoryBound: 0
; FloatMode: 240
; IeeeMode: 1
; LDSByteSize: 0 bytes/workgroup (compile time only)
; SGPRBlocks: 2
; VGPRBlocks: 7
; NumSGPRsForWavesPerEU: 23
; NumVGPRsForWavesPerEU: 62
; Occupancy: 16
; WaveLimiterHint : 1
; COMPUTE_PGM_RSRC2:SCRATCH_EN: 0
; COMPUTE_PGM_RSRC2:USER_SGPR: 6
; COMPUTE_PGM_RSRC2:TRAP_HANDLER: 0
; COMPUTE_PGM_RSRC2:TGID_X_EN: 1
; COMPUTE_PGM_RSRC2:TGID_Y_EN: 0
; COMPUTE_PGM_RSRC2:TGID_Z_EN: 0
; COMPUTE_PGM_RSRC2:TIDIG_COMP_CNT: 0
	.text
	.p2alignl 6, 3214868480
	.fill 48, 4, 3214868480
	.type	__hip_cuid_9612e110939c4cc0,@object ; @__hip_cuid_9612e110939c4cc0
	.section	.bss,"aw",@nobits
	.globl	__hip_cuid_9612e110939c4cc0
__hip_cuid_9612e110939c4cc0:
	.byte	0                               ; 0x0
	.size	__hip_cuid_9612e110939c4cc0, 1

	.ident	"AMD clang version 19.0.0git (https://github.com/RadeonOpenCompute/llvm-project roc-6.4.0 25133 c7fe45cf4b819c5991fe208aaa96edf142730f1d)"
	.section	".note.GNU-stack","",@progbits
	.addrsig
	.addrsig_sym __hip_cuid_9612e110939c4cc0
	.amdgpu_metadata
---
amdhsa.kernels:
  - .args:
      - .actual_access:  read_only
        .address_space:  global
        .offset:         0
        .size:           8
        .value_kind:     global_buffer
      - .offset:         8
        .size:           8
        .value_kind:     by_value
      - .actual_access:  read_only
        .address_space:  global
        .offset:         16
        .size:           8
        .value_kind:     global_buffer
      - .actual_access:  read_only
        .address_space:  global
        .offset:         24
        .size:           8
        .value_kind:     global_buffer
      - .offset:         32
        .size:           8
        .value_kind:     by_value
      - .actual_access:  read_only
        .address_space:  global
        .offset:         40
        .size:           8
        .value_kind:     global_buffer
      - .actual_access:  read_only
        .address_space:  global
        .offset:         48
        .size:           8
        .value_kind:     global_buffer
      - .offset:         56
        .size:           4
        .value_kind:     by_value
      - .actual_access:  read_only
        .address_space:  global
        .offset:         64
        .size:           8
        .value_kind:     global_buffer
      - .actual_access:  read_only
        .address_space:  global
        .offset:         72
        .size:           8
        .value_kind:     global_buffer
      - .address_space:  global
        .offset:         80
        .size:           8
        .value_kind:     global_buffer
    .group_segment_fixed_size: 0
    .kernarg_segment_align: 8
    .kernarg_segment_size: 88
    .language:       OpenCL C
    .language_version:
      - 2
      - 0
    .max_flat_workgroup_size: 196
    .name:           fft_rtc_fwd_len1372_factors_2_2_7_7_7_wgs_196_tpt_98_halfLds_half_ip_CI_unitstride_sbrr_C2R_dirReg
    .private_segment_fixed_size: 0
    .sgpr_count:     23
    .sgpr_spill_count: 0
    .symbol:         fft_rtc_fwd_len1372_factors_2_2_7_7_7_wgs_196_tpt_98_halfLds_half_ip_CI_unitstride_sbrr_C2R_dirReg.kd
    .uniform_work_group_size: 1
    .uses_dynamic_stack: false
    .vgpr_count:     62
    .vgpr_spill_count: 0
    .wavefront_size: 32
    .workgroup_processor_mode: 1
amdhsa.target:   amdgcn-amd-amdhsa--gfx1030
amdhsa.version:
  - 1
  - 2
...

	.end_amdgpu_metadata
